;; amdgpu-corpus repo=ROCm/rocFFT kind=compiled arch=gfx950 opt=O3
	.text
	.amdgcn_target "amdgcn-amd-amdhsa--gfx950"
	.amdhsa_code_object_version 6
	.protected	fft_rtc_fwd_len132_factors_11_6_2_wgs_110_tpt_22_sp_ip_CI_sbrr_dirReg ; -- Begin function fft_rtc_fwd_len132_factors_11_6_2_wgs_110_tpt_22_sp_ip_CI_sbrr_dirReg
	.globl	fft_rtc_fwd_len132_factors_11_6_2_wgs_110_tpt_22_sp_ip_CI_sbrr_dirReg
	.p2align	8
	.type	fft_rtc_fwd_len132_factors_11_6_2_wgs_110_tpt_22_sp_ip_CI_sbrr_dirReg,@function
fft_rtc_fwd_len132_factors_11_6_2_wgs_110_tpt_22_sp_ip_CI_sbrr_dirReg: ; @fft_rtc_fwd_len132_factors_11_6_2_wgs_110_tpt_22_sp_ip_CI_sbrr_dirReg
; %bb.0:
	s_load_dwordx2 s[12:13], s[0:1], 0x18
	s_load_dwordx4 s[4:7], s[0:1], 0x0
	s_load_dwordx2 s[10:11], s[0:1], 0x50
	v_mul_u32_u24_e32 v1, 0xba3, v0
	v_lshrrev_b32_e32 v2, 16, v1
	s_waitcnt lgkmcnt(0)
	s_load_dwordx2 s[8:9], s[12:13], 0x0
	v_mad_u64_u32 v[2:3], s[2:3], s2, 5, v[2:3]
	v_mov_b32_e32 v6, 0
	v_mov_b32_e32 v3, v6
	v_cmp_lt_u64_e64 s[2:3], s[6:7], 2
	s_and_b64 vcc, exec, s[2:3]
	v_mov_b64_e32 v[4:5], 0
	v_mov_b64_e32 v[10:11], v[2:3]
	s_cbranch_vccnz .LBB0_8
; %bb.1:
	s_load_dwordx2 s[2:3], s[0:1], 0x10
	s_add_u32 s14, s12, 8
	s_addc_u32 s15, s13, 0
	s_mov_b64 s[16:17], 1
	v_mov_b64_e32 v[4:5], 0
	s_waitcnt lgkmcnt(0)
	s_add_u32 s18, s2, 8
	s_addc_u32 s19, s3, 0
	v_mov_b64_e32 v[8:9], v[2:3]
.LBB0_2:                                ; =>This Inner Loop Header: Depth=1
	s_load_dwordx2 s[20:21], s[18:19], 0x0
                                        ; implicit-def: $vgpr10_vgpr11
	s_waitcnt lgkmcnt(0)
	v_or_b32_e32 v7, s21, v9
	v_cmp_ne_u64_e32 vcc, 0, v[6:7]
	s_and_saveexec_b64 s[2:3], vcc
	s_xor_b64 s[22:23], exec, s[2:3]
	s_cbranch_execz .LBB0_4
; %bb.3:                                ;   in Loop: Header=BB0_2 Depth=1
	v_cvt_f32_u32_e32 v1, s20
	v_cvt_f32_u32_e32 v3, s21
	s_sub_u32 s2, 0, s20
	s_subb_u32 s3, 0, s21
	v_fmac_f32_e32 v1, 0x4f800000, v3
	v_rcp_f32_e32 v1, v1
	s_nop 0
	v_mul_f32_e32 v1, 0x5f7ffffc, v1
	v_mul_f32_e32 v3, 0x2f800000, v1
	v_trunc_f32_e32 v3, v3
	v_fmac_f32_e32 v1, 0xcf800000, v3
	v_cvt_u32_f32_e32 v3, v3
	v_cvt_u32_f32_e32 v1, v1
	v_mul_lo_u32 v7, s2, v3
	v_mul_hi_u32 v10, s2, v1
	v_mul_lo_u32 v11, s3, v1
	v_add_u32_e32 v7, v10, v7
	v_mul_lo_u32 v14, s2, v1
	v_add_u32_e32 v7, v7, v11
	v_mul_hi_u32 v10, v1, v14
	v_mul_hi_u32 v13, v1, v7
	v_mul_lo_u32 v12, v1, v7
	v_mov_b32_e32 v11, v6
	v_lshl_add_u64 v[10:11], v[10:11], 0, v[12:13]
	v_mul_hi_u32 v13, v3, v14
	v_mul_lo_u32 v14, v3, v14
	v_add_co_u32_e32 v10, vcc, v10, v14
	v_mul_hi_u32 v12, v3, v7
	s_nop 0
	v_addc_co_u32_e32 v10, vcc, v11, v13, vcc
	v_mov_b32_e32 v11, v6
	s_nop 0
	v_addc_co_u32_e32 v13, vcc, 0, v12, vcc
	v_mul_lo_u32 v12, v3, v7
	v_lshl_add_u64 v[10:11], v[10:11], 0, v[12:13]
	v_add_co_u32_e32 v1, vcc, v1, v10
	v_mul_hi_u32 v10, s2, v1
	s_nop 0
	v_addc_co_u32_e32 v3, vcc, v3, v11, vcc
	v_mul_lo_u32 v7, s2, v3
	v_add_u32_e32 v7, v10, v7
	v_mul_lo_u32 v10, s3, v1
	v_add_u32_e32 v7, v7, v10
	v_mul_lo_u32 v12, s2, v1
	v_mul_hi_u32 v15, v3, v12
	v_mul_lo_u32 v16, v3, v12
	v_mul_hi_u32 v11, v1, v7
	;; [unrolled: 2-line block ×3, first 2 shown]
	v_mov_b32_e32 v13, v6
	v_lshl_add_u64 v[10:11], v[12:13], 0, v[10:11]
	v_add_co_u32_e32 v10, vcc, v10, v16
	v_mul_hi_u32 v14, v3, v7
	s_nop 0
	v_addc_co_u32_e32 v10, vcc, v11, v15, vcc
	v_mul_lo_u32 v12, v3, v7
	s_nop 0
	v_addc_co_u32_e32 v13, vcc, 0, v14, vcc
	v_mov_b32_e32 v11, v6
	v_lshl_add_u64 v[10:11], v[10:11], 0, v[12:13]
	v_add_co_u32_e32 v1, vcc, v1, v10
	v_mul_hi_u32 v12, v8, v1
	s_nop 0
	v_addc_co_u32_e32 v3, vcc, v3, v11, vcc
	v_mad_u64_u32 v[10:11], s[2:3], v8, v3, 0
	v_mov_b32_e32 v13, v6
	v_lshl_add_u64 v[10:11], v[12:13], 0, v[10:11]
	v_mad_u64_u32 v[14:15], s[2:3], v9, v1, 0
	v_add_co_u32_e32 v1, vcc, v10, v14
	v_mad_u64_u32 v[12:13], s[2:3], v9, v3, 0
	s_nop 0
	v_addc_co_u32_e32 v10, vcc, v11, v15, vcc
	v_mov_b32_e32 v11, v6
	s_nop 0
	v_addc_co_u32_e32 v13, vcc, 0, v13, vcc
	v_lshl_add_u64 v[10:11], v[10:11], 0, v[12:13]
	v_mul_lo_u32 v1, s21, v10
	v_mul_lo_u32 v3, s20, v11
	v_mad_u64_u32 v[12:13], s[2:3], s20, v10, 0
	v_add3_u32 v1, v13, v3, v1
	v_sub_u32_e32 v3, v9, v1
	v_mov_b32_e32 v7, s21
	v_sub_co_u32_e32 v16, vcc, v8, v12
	v_lshl_add_u64 v[14:15], v[10:11], 0, 1
	s_nop 0
	v_subb_co_u32_e64 v3, s[2:3], v3, v7, vcc
	v_subrev_co_u32_e64 v7, s[2:3], s20, v16
	v_subb_co_u32_e32 v1, vcc, v9, v1, vcc
	s_nop 0
	v_subbrev_co_u32_e64 v3, s[2:3], 0, v3, s[2:3]
	v_cmp_le_u32_e64 s[2:3], s21, v3
	v_cmp_le_u32_e32 vcc, s21, v1
	s_nop 0
	v_cndmask_b32_e64 v12, 0, -1, s[2:3]
	v_cmp_le_u32_e64 s[2:3], s20, v7
	s_nop 1
	v_cndmask_b32_e64 v7, 0, -1, s[2:3]
	v_cmp_eq_u32_e64 s[2:3], s21, v3
	s_nop 1
	v_cndmask_b32_e64 v3, v12, v7, s[2:3]
	v_lshl_add_u64 v[12:13], v[10:11], 0, 2
	v_cmp_ne_u32_e64 s[2:3], 0, v3
	v_cndmask_b32_e64 v7, 0, -1, vcc
	v_cmp_le_u32_e32 vcc, s20, v16
	v_cndmask_b32_e64 v3, v15, v13, s[2:3]
	s_nop 0
	v_cndmask_b32_e64 v13, 0, -1, vcc
	v_cmp_eq_u32_e32 vcc, s21, v1
	s_nop 1
	v_cndmask_b32_e32 v1, v7, v13, vcc
	v_cmp_ne_u32_e32 vcc, 0, v1
	v_cndmask_b32_e64 v1, v14, v12, s[2:3]
	s_nop 0
	v_cndmask_b32_e32 v11, v11, v3, vcc
	v_cndmask_b32_e32 v10, v10, v1, vcc
.LBB0_4:                                ;   in Loop: Header=BB0_2 Depth=1
	s_andn2_saveexec_b64 s[2:3], s[22:23]
	s_cbranch_execz .LBB0_6
; %bb.5:                                ;   in Loop: Header=BB0_2 Depth=1
	v_cvt_f32_u32_e32 v1, s20
	s_sub_i32 s22, 0, s20
	v_mov_b32_e32 v11, v6
	v_rcp_iflag_f32_e32 v1, v1
	s_nop 0
	v_mul_f32_e32 v1, 0x4f7ffffe, v1
	v_cvt_u32_f32_e32 v1, v1
	v_mul_lo_u32 v3, s22, v1
	v_mul_hi_u32 v3, v1, v3
	v_add_u32_e32 v1, v1, v3
	v_mul_hi_u32 v1, v8, v1
	v_mul_lo_u32 v3, v1, s20
	v_sub_u32_e32 v3, v8, v3
	v_add_u32_e32 v7, 1, v1
	v_subrev_u32_e32 v10, s20, v3
	v_cmp_le_u32_e32 vcc, s20, v3
	s_nop 1
	v_cndmask_b32_e32 v3, v3, v10, vcc
	v_cndmask_b32_e32 v1, v1, v7, vcc
	v_add_u32_e32 v7, 1, v1
	v_cmp_le_u32_e32 vcc, s20, v3
	s_nop 1
	v_cndmask_b32_e32 v10, v1, v7, vcc
.LBB0_6:                                ;   in Loop: Header=BB0_2 Depth=1
	s_or_b64 exec, exec, s[2:3]
	v_mad_u64_u32 v[12:13], s[2:3], v10, s20, 0
	s_load_dwordx2 s[2:3], s[14:15], 0x0
	s_add_u32 s16, s16, 1
	v_mul_lo_u32 v1, v11, s20
	v_mul_lo_u32 v3, v10, s21
	s_addc_u32 s17, s17, 0
	v_add3_u32 v1, v13, v3, v1
	v_sub_co_u32_e32 v3, vcc, v8, v12
	s_add_u32 s14, s14, 8
	s_nop 0
	v_subb_co_u32_e32 v1, vcc, v9, v1, vcc
	s_addc_u32 s15, s15, 0
	v_mov_b64_e32 v[8:9], s[6:7]
	s_waitcnt lgkmcnt(0)
	v_mul_lo_u32 v1, s2, v1
	v_mul_lo_u32 v7, s3, v3
	v_mad_u64_u32 v[4:5], s[2:3], s2, v3, v[4:5]
	s_add_u32 s18, s18, 8
	v_cmp_ge_u64_e32 vcc, s[16:17], v[8:9]
	v_add3_u32 v5, v7, v5, v1
	s_addc_u32 s19, s19, 0
	s_cbranch_vccnz .LBB0_8
; %bb.7:                                ;   in Loop: Header=BB0_2 Depth=1
	v_mov_b64_e32 v[8:9], v[10:11]
	s_branch .LBB0_2
.LBB0_8:
	s_lshl_b64 s[2:3], s[6:7], 3
	s_add_u32 s2, s12, s2
	s_addc_u32 s3, s13, s3
	s_load_dwordx2 s[6:7], s[2:3], 0x0
	s_load_dwordx2 s[12:13], s[0:1], 0x20
	s_waitcnt lgkmcnt(0)
	v_mad_u64_u32 v[4:5], s[0:1], s6, v10, v[4:5]
	v_mul_lo_u32 v1, s6, v11
	v_mul_lo_u32 v3, s7, v10
	s_mov_b32 s0, 0xcccccccd
	v_add3_u32 v5, v3, v5, v1
	v_mul_hi_u32 v1, v2, s0
	v_lshrrev_b32_e32 v1, 2, v1
	v_lshl_add_u32 v1, v1, 2, v1
	s_mov_b32 s0, 0xba2e8bb
	v_sub_u32_e32 v1, v2, v1
	v_mul_hi_u32 v2, v0, s0
	v_mul_u32_u24_e32 v2, 22, v2
	v_mul_u32_u24_e32 v1, 0x84, v1
	v_sub_u32_e32 v22, v0, v2
	v_cmp_gt_u64_e32 vcc, s[12:13], v[10:11]
	v_lshl_add_u64 v[20:21], v[4:5], 3, s[10:11]
	v_lshlrev_b32_e32 v40, 3, v1
	v_lshlrev_b32_e32 v0, 3, v22
	v_add_u32_e32 v37, 22, v22
	v_add_u32_e32 v36, 44, v22
	s_and_saveexec_b64 s[0:1], vcc
	s_cbranch_execz .LBB0_10
; %bb.9:
	v_mad_u64_u32 v[2:3], s[2:3], s8, v22, 0
	v_mov_b32_e32 v4, v3
	v_mad_u64_u32 v[4:5], s[2:3], s9, v22, v[4:5]
	v_mov_b32_e32 v3, v4
	;; [unrolled: 2-line block ×5, first 2 shown]
	v_mad_u64_u32 v[8:9], s[2:3], s9, v36, v[8:9]
	v_add_u32_e32 v1, 0x42, v22
	v_mov_b32_e32 v7, v8
	v_mad_u64_u32 v[8:9], s[2:3], s8, v1, 0
	v_mov_b32_e32 v10, v9
	v_mad_u64_u32 v[10:11], s[2:3], s9, v1, v[10:11]
	v_lshl_add_u64 v[2:3], v[2:3], 3, v[20:21]
	v_mov_b32_e32 v9, v10
	v_add_u32_e32 v1, 0x58, v22
	v_lshl_add_u64 v[4:5], v[4:5], 3, v[20:21]
	v_lshl_add_u64 v[6:7], v[6:7], 3, v[20:21]
	;; [unrolled: 1-line block ×3, first 2 shown]
	global_load_dwordx2 v[10:11], v[2:3], off
	global_load_dwordx2 v[12:13], v[4:5], off
	;; [unrolled: 1-line block ×4, first 2 shown]
	v_mad_u64_u32 v[2:3], s[2:3], s8, v1, 0
	v_mov_b32_e32 v4, v3
	v_mad_u64_u32 v[4:5], s[2:3], s9, v1, v[4:5]
	v_add_u32_e32 v1, 0x6e, v22
	v_mov_b32_e32 v3, v4
	v_mad_u64_u32 v[4:5], s[2:3], s8, v1, 0
	v_mov_b32_e32 v6, v5
	v_mad_u64_u32 v[6:7], s[2:3], s9, v1, v[6:7]
	v_lshl_add_u64 v[2:3], v[2:3], 3, v[20:21]
	v_mov_b32_e32 v5, v6
	v_lshl_add_u64 v[4:5], v[4:5], 3, v[20:21]
	global_load_dwordx2 v[6:7], v[2:3], off
	global_load_dwordx2 v[8:9], v[4:5], off
	v_add3_u32 v1, 0, v40, v0
	s_waitcnt vmcnt(4)
	ds_write2_b64 v1, v[10:11], v[12:13] offset1:22
	s_waitcnt vmcnt(2)
	ds_write2_b64 v1, v[14:15], v[16:17] offset0:44 offset1:66
	s_waitcnt vmcnt(0)
	ds_write2_b64 v1, v[6:7], v[8:9] offset0:88 offset1:110
.LBB0_10:
	s_or_b64 exec, exec, s[0:1]
	v_add3_u32 v38, 0, v40, v0
	v_add_u32_e32 v23, 0, v0
	s_waitcnt lgkmcnt(0)
	s_barrier
	v_add_u32_e32 v39, v23, v40
	ds_read_b64 v[24:25], v38
	ds_read2_b64 v[16:19], v39 offset0:12 offset1:24
	ds_read2_b64 v[12:15], v39 offset0:36 offset1:48
	;; [unrolled: 1-line block ×5, first 2 shown]
	v_cmp_gt_u32_e64 s[0:1], 12, v22
	s_waitcnt lgkmcnt(0)
	s_barrier
	s_and_saveexec_b64 s[2:3], s[0:1]
	s_cbranch_execz .LBB0_12
; %bb.11:
	v_pk_add_f32 v[42:43], v[16:17], v[2:3] neg_lo:[0,1] neg_hi:[0,1]
	v_pk_add_f32 v[34:35], v[2:3], v[16:17]
	v_pk_add_f32 v[16:17], v[24:25], v[16:17]
	v_pk_add_f32 v[46:47], v[12:13], v[6:7] neg_lo:[0,1] neg_hi:[0,1]
	v_pk_add_f32 v[16:17], v[16:17], v[18:19]
	v_pk_add_f32 v[30:31], v[6:7], v[12:13]
	v_pk_add_f32 v[12:13], v[16:17], v[12:13]
	v_pk_add_f32 v[50:51], v[8:9], v[10:11] neg_lo:[0,1] neg_hi:[0,1]
	v_pk_add_f32 v[12:13], v[12:13], v[14:15]
	;; [unrolled: 4-line block ×3, first 2 shown]
	v_pk_add_f32 v[28:29], v[4:5], v[14:15]
	v_pk_add_f32 v[4:5], v[8:9], v[4:5]
	s_mov_b32 s26, 0x3f575c64
	v_pk_add_f32 v[4:5], v[4:5], v[6:7]
	v_pk_add_f32 v[44:45], v[18:19], v[0:1] neg_lo:[0,1] neg_hi:[0,1]
	v_pk_add_f32 v[32:33], v[0:1], v[18:19]
	v_pk_add_f32 v[0:1], v[4:5], v[0:1]
	v_mov_b32_e32 v54, v34
	v_mov_b32_e32 v55, v42
	s_mov_b32 s27, 0xbf0a6770
	v_pk_add_f32 v[52:53], v[0:1], v[2:3]
	v_pk_mul_f32 v[0:1], v[54:55], s[26:27]
	v_mov_b32_e32 v34, v43
	s_mov_b32 s0, s27
	s_mov_b32 s1, s26
	v_pk_fma_f32 v[4:5], v[34:35], s[0:1], v[0:1] neg_lo:[1,0,0] neg_hi:[1,0,0]
	v_pk_fma_f32 v[2:3], v[34:35], s[0:1], v[0:1]
	v_mov_b32_e32 v42, v32
	v_mov_b32_e32 v5, v3
	;; [unrolled: 1-line block ×3, first 2 shown]
	s_mov_b32 s21, 0xbf68dda4
	s_mov_b32 s20, 0x3ed4b147
	v_pk_add_f32 v[8:9], v[24:25], v[4:5]
	v_pk_mul_f32 v[4:5], v[42:43], s[20:21]
	v_mov_b32_e32 v32, v45
	s_mov_b32 s6, s21
	s_mov_b32 s7, s20
	v_pk_fma_f32 v[10:11], v[32:33], s[6:7], v[4:5] neg_lo:[1,0,0] neg_hi:[1,0,0]
	v_pk_fma_f32 v[6:7], v[32:33], s[6:7], v[4:5]
	s_mov_b32 s24, 0xbe11bafb
	v_mov_b32_e32 v11, v7
	v_mov_b32_e32 v44, v30
	v_mov_b32_e32 v45, v46
	s_mov_b32 s25, 0xbf7d64f0
	v_pk_add_f32 v[12:13], v[10:11], v[8:9]
	v_pk_mul_f32 v[8:9], v[44:45], s[24:25]
	v_mov_b32_e32 v30, v47
	s_mov_b32 s10, s25
	s_mov_b32 s11, s24
	v_pk_fma_f32 v[14:15], v[30:31], s[10:11], v[8:9] neg_lo:[1,0,0] neg_hi:[1,0,0]
	v_pk_fma_f32 v[10:11], v[30:31], s[10:11], v[8:9]
	s_mov_b32 s28, 0xbf27a4f4
	v_mov_b32_e32 v15, v11
	v_mov_b32_e32 v46, v28
	v_mov_b32_e32 v47, v48
	;; [unrolled: 12-line block ×3, first 2 shown]
	s_mov_b32 s35, 0xbe903f40
	v_pk_add_f32 v[48:49], v[18:19], v[16:17]
	v_pk_mul_f32 v[16:17], v[56:57], s[34:35]
	v_mov_b32_e32 v26, v51
	s_mov_b32 s14, s35
	s_mov_b32 s15, s34
	v_pk_fma_f32 v[50:51], v[26:27], s[14:15], v[16:17] neg_lo:[1,0,0] neg_hi:[1,0,0]
	v_pk_fma_f32 v[18:19], v[26:27], s[14:15], v[16:17]
	v_mul_u32_u24_e32 v41, 0x50, v22
	v_mov_b32_e32 v51, v19
	v_add3_u32 v23, v23, v41, v40
	v_pk_add_f32 v[48:49], v[50:51], v[48:49]
	ds_write2_b64 v23, v[52:53], v[48:49] offset1:1
	v_pk_mul_f32 v[48:49], v[54:55], s[20:21]
	v_pk_mul_f32 v[58:59], v[42:43], s[28:29]
	v_pk_fma_f32 v[50:51], v[34:35], s[6:7], v[48:49] neg_lo:[1,0,0] neg_hi:[1,0,0]
	v_pk_fma_f32 v[52:53], v[34:35], s[6:7], v[48:49]
	v_pk_fma_f32 v[60:61], v[32:33], s[12:13], v[58:59] neg_lo:[1,0,0] neg_hi:[1,0,0]
	v_mov_b32_e32 v51, v53
	v_pk_fma_f32 v[62:63], v[32:33], s[12:13], v[58:59]
	v_pk_add_f32 v[50:51], v[24:25], v[50:51]
	v_mov_b32_e32 v61, v63
	s_mov_b32 s31, 0x3e903f40
	s_mov_b32 s30, s34
	v_pk_add_f32 v[50:51], v[60:61], v[50:51]
	v_pk_mul_f32 v[60:61], v[44:45], s[30:31]
	s_mov_b32 s16, s31
	s_mov_b32 s17, s34
	v_pk_fma_f32 v[64:65], v[30:31], s[16:17], v[60:61] neg_lo:[1,0,0] neg_hi:[1,0,0]
	v_pk_fma_f32 v[66:67], v[30:31], s[16:17], v[60:61]
	s_mov_b32 s37, 0x3f7d64f0
	v_mov_b32_e32 v65, v67
	s_mov_b32 s36, s24
	v_pk_add_f32 v[50:51], v[64:65], v[50:51]
	s_mov_b32 s18, s37
	s_mov_b32 s19, s24
	v_pk_mul_f32 v[64:65], v[46:47], s[36:37]
	s_mov_b32 s39, 0x3f0a6770
	v_pk_fma_f32 v[68:69], v[28:29], s[18:19], v[64:65] neg_lo:[1,0,0] neg_hi:[1,0,0]
	v_pk_fma_f32 v[70:71], v[28:29], s[18:19], v[64:65]
	s_mov_b32 s38, s26
	v_mov_b32_e32 v69, v71
	v_pk_add_f32 v[50:51], v[68:69], v[50:51]
	s_mov_b32 s22, s39
	s_mov_b32 s23, s26
	v_pk_mul_f32 v[68:69], v[56:57], s[38:39]
	v_pk_mul_f32 v[80:81], v[42:43], s[30:31]
	v_pk_fma_f32 v[72:73], v[26:27], s[22:23], v[68:69] neg_lo:[1,0,0] neg_hi:[1,0,0]
	v_pk_fma_f32 v[74:75], v[26:27], s[22:23], v[68:69]
	v_pk_fma_f32 v[82:83], v[32:33], s[16:17], v[80:81] neg_lo:[1,0,0] neg_hi:[1,0,0]
	v_mov_b32_e32 v73, v75
	v_pk_add_f32 v[50:51], v[72:73], v[50:51]
	v_pk_mul_f32 v[72:73], v[54:55], s[24:25]
	v_pk_fma_f32 v[84:85], v[32:33], s[16:17], v[80:81]
	v_pk_fma_f32 v[76:77], v[34:35], s[10:11], v[72:73] neg_lo:[1,0,0] neg_hi:[1,0,0]
	v_pk_fma_f32 v[78:79], v[34:35], s[10:11], v[72:73]
	v_mov_b32_e32 v83, v85
	v_mov_b32_e32 v77, v79
	v_pk_add_f32 v[76:77], v[24:25], v[76:77]
	s_mov_b32 s21, 0x3f68dda4
	v_pk_add_f32 v[76:77], v[82:83], v[76:77]
	s_mov_b32 s30, s21
	s_mov_b32 s31, s20
	v_pk_mul_f32 v[82:83], v[44:45], s[20:21]
	v_pk_mul_f32 v[98:99], v[42:43], s[36:37]
	v_pk_fma_f32 v[86:87], v[30:31], s[30:31], v[82:83] neg_lo:[1,0,0] neg_hi:[1,0,0]
	v_pk_fma_f32 v[88:89], v[30:31], s[30:31], v[82:83]
	v_pk_fma_f32 v[100:101], v[32:33], s[18:19], v[98:99] neg_lo:[1,0,0] neg_hi:[1,0,0]
	v_mov_b32_e32 v87, v89
	v_pk_add_f32 v[76:77], v[86:87], v[76:77]
	v_pk_mul_f32 v[86:87], v[46:47], s[26:27]
	v_pk_fma_f32 v[102:103], v[32:33], s[18:19], v[98:99]
	v_pk_fma_f32 v[90:91], v[28:29], s[0:1], v[86:87] neg_lo:[1,0,0] neg_hi:[1,0,0]
	v_pk_fma_f32 v[92:93], v[28:29], s[0:1], v[86:87]
	v_mov_b32_e32 v101, v103
	v_mov_b32_e32 v91, v93
	v_pk_add_f32 v[76:77], v[90:91], v[76:77]
	v_pk_mul_f32 v[90:91], v[56:57], s[28:29]
	v_pk_mul_f32 v[42:43], v[42:43], s[38:39]
	v_pk_fma_f32 v[94:95], v[26:27], s[12:13], v[90:91] neg_lo:[1,0,0] neg_hi:[1,0,0]
	v_pk_fma_f32 v[96:97], v[26:27], s[12:13], v[90:91]
	v_pk_fma_f32 v[118:119], v[32:33], s[22:23], v[42:43] neg_lo:[1,0,0] neg_hi:[1,0,0]
	v_mov_b32_e32 v95, v97
	v_pk_add_f32 v[76:77], v[94:95], v[76:77]
	ds_write2_b64 v23, v[50:51], v[76:77] offset0:2 offset1:3
	v_pk_mul_f32 v[50:51], v[54:55], s[28:29]
	v_pk_mul_f32 v[54:55], v[54:55], s[34:35]
	v_pk_fma_f32 v[76:77], v[34:35], s[12:13], v[50:51] neg_lo:[1,0,0] neg_hi:[1,0,0]
	v_pk_fma_f32 v[94:95], v[34:35], s[12:13], v[50:51]
	v_pk_fma_f32 v[116:117], v[34:35], s[14:15], v[54:55]
	v_mov_b32_e32 v77, v95
	v_pk_add_f32 v[76:77], v[24:25], v[76:77]
	v_pk_fma_f32 v[120:121], v[32:33], s[22:23], v[42:43]
	v_pk_add_f32 v[76:77], v[100:101], v[76:77]
	v_pk_mul_f32 v[100:101], v[44:45], s[26:27]
	v_mov_b32_e32 v119, v121
	v_pk_fma_f32 v[104:105], v[30:31], s[0:1], v[100:101] neg_lo:[1,0,0] neg_hi:[1,0,0]
	v_pk_fma_f32 v[106:107], v[30:31], s[0:1], v[100:101]
	v_pk_mul_f32 v[44:45], v[44:45], s[28:29]
	v_mov_b32_e32 v105, v107
	v_pk_add_f32 v[76:77], v[104:105], v[76:77]
	v_pk_mul_f32 v[104:105], v[46:47], s[34:35]
	v_pk_fma_f32 v[122:123], v[30:31], s[12:13], v[44:45]
	v_pk_fma_f32 v[108:109], v[28:29], s[14:15], v[104:105] neg_lo:[1,0,0] neg_hi:[1,0,0]
	v_pk_fma_f32 v[110:111], v[28:29], s[14:15], v[104:105]
	v_pk_mul_f32 v[46:47], v[46:47], s[20:21]
	v_mov_b32_e32 v109, v111
	v_pk_add_f32 v[76:77], v[108:109], v[76:77]
	v_pk_mul_f32 v[108:109], v[56:57], s[20:21]
	v_pk_fma_f32 v[124:125], v[28:29], s[30:31], v[46:47]
	v_pk_fma_f32 v[112:113], v[26:27], s[30:31], v[108:109] neg_lo:[1,0,0] neg_hi:[1,0,0]
	v_pk_fma_f32 v[114:115], v[26:27], s[30:31], v[108:109]
	v_pk_mul_f32 v[56:57], v[56:57], s[24:25]
	v_mov_b32_e32 v113, v115
	v_pk_add_f32 v[76:77], v[112:113], v[76:77]
	v_pk_fma_f32 v[112:113], v[34:35], s[14:15], v[54:55] neg_lo:[1,0,0] neg_hi:[1,0,0]
	v_pk_fma_f32 v[126:127], v[26:27], s[10:11], v[56:57]
	v_mov_b32_e32 v113, v117
	v_pk_add_f32 v[112:113], v[24:25], v[112:113]
	v_pk_fma_f32 v[54:55], v[34:35], s[14:15], v[54:55] neg_lo:[0,0,1] neg_hi:[0,0,1]
	v_pk_add_f32 v[112:113], v[118:119], v[112:113]
	v_pk_fma_f32 v[118:119], v[30:31], s[12:13], v[44:45] neg_lo:[1,0,0] neg_hi:[1,0,0]
	v_pk_fma_f32 v[44:45], v[30:31], s[12:13], v[44:45] neg_lo:[0,0,1] neg_hi:[0,0,1]
	v_mov_b32_e32 v119, v123
	v_pk_add_f32 v[112:113], v[118:119], v[112:113]
	v_pk_fma_f32 v[118:119], v[28:29], s[30:31], v[46:47] neg_lo:[1,0,0] neg_hi:[1,0,0]
	v_mov_b32_e32 v123, v45
	v_mov_b32_e32 v119, v125
	v_pk_fma_f32 v[44:45], v[28:29], s[30:31], v[46:47] neg_lo:[0,0,1] neg_hi:[0,0,1]
	v_pk_add_f32 v[112:113], v[118:119], v[112:113]
	v_pk_fma_f32 v[118:119], v[26:27], s[10:11], v[56:57] neg_lo:[1,0,0] neg_hi:[1,0,0]
	v_mov_b32_e32 v125, v45
	v_pk_fma_f32 v[44:45], v[26:27], s[10:11], v[56:57] neg_lo:[0,0,1] neg_hi:[0,0,1]
	v_mov_b32_e32 v119, v127
	v_mov_b32_e32 v127, v45
	v_pk_fma_f32 v[44:45], v[34:35], s[12:13], v[50:51] neg_lo:[0,0,1] neg_hi:[0,0,1]
	v_mov_b32_e32 v117, v55
	v_pk_fma_f32 v[42:43], v[32:33], s[22:23], v[42:43] neg_lo:[0,0,1] neg_hi:[0,0,1]
	;; [unrolled: 2-line block ×3, first 2 shown]
	v_mov_b32_e32 v121, v43
	v_pk_add_f32 v[42:43], v[24:25], v[116:117]
	v_mov_b32_e32 v103, v45
	v_pk_add_f32 v[44:45], v[24:25], v[94:95]
	v_pk_fma_f32 v[46:47], v[30:31], s[0:1], v[100:101] neg_lo:[0,0,1] neg_hi:[0,0,1]
	v_pk_add_f32 v[42:43], v[120:121], v[42:43]
	v_pk_add_f32 v[44:45], v[102:103], v[44:45]
	v_mov_b32_e32 v107, v47
	v_pk_fma_f32 v[46:47], v[28:29], s[14:15], v[104:105] neg_lo:[0,0,1] neg_hi:[0,0,1]
	v_pk_add_f32 v[42:43], v[122:123], v[42:43]
	v_pk_add_f32 v[44:45], v[106:107], v[44:45]
	v_mov_b32_e32 v111, v47
	;; [unrolled: 4-line block ×3, first 2 shown]
	v_pk_add_f32 v[42:43], v[126:127], v[42:43]
	v_pk_add_f32 v[44:45], v[114:115], v[44:45]
	ds_write2_b64 v23, v[42:43], v[44:45] offset0:6 offset1:7
	v_pk_fma_f32 v[44:45], v[30:31], s[30:31], v[82:83] neg_lo:[0,0,1] neg_hi:[0,0,1]
	v_pk_fma_f32 v[0:1], v[34:35], s[0:1], v[0:1] neg_lo:[0,0,1] neg_hi:[0,0,1]
	v_mov_b32_e32 v89, v45
	v_pk_fma_f32 v[44:45], v[28:29], s[0:1], v[86:87] neg_lo:[0,0,1] neg_hi:[0,0,1]
	v_pk_fma_f32 v[42:43], v[34:35], s[10:11], v[72:73] neg_lo:[0,0,1] neg_hi:[0,0,1]
	v_mov_b32_e32 v93, v45
	v_pk_fma_f32 v[44:45], v[26:27], s[12:13], v[90:91] neg_lo:[0,0,1] neg_hi:[0,0,1]
	v_mov_b32_e32 v3, v1
	v_mov_b32_e32 v97, v45
	v_pk_fma_f32 v[44:45], v[34:35], s[6:7], v[48:49] neg_lo:[0,0,1] neg_hi:[0,0,1]
	v_mov_b32_e32 v79, v43
	v_pk_fma_f32 v[42:43], v[32:33], s[16:17], v[80:81] neg_lo:[0,0,1] neg_hi:[0,0,1]
	;; [unrolled: 2-line block ×3, first 2 shown]
	v_pk_add_f32 v[0:1], v[24:25], v[2:3]
	v_pk_fma_f32 v[2:3], v[32:33], s[6:7], v[4:5] neg_lo:[0,0,1] neg_hi:[0,0,1]
	v_mov_b32_e32 v85, v43
	v_pk_add_f32 v[42:43], v[24:25], v[78:79]
	v_pk_add_f32 v[44:45], v[24:25], v[52:53]
	v_mov_b32_e32 v63, v47
	v_pk_fma_f32 v[46:47], v[30:31], s[16:17], v[60:61] neg_lo:[0,0,1] neg_hi:[0,0,1]
	v_mov_b32_e32 v7, v3
	v_pk_fma_f32 v[2:3], v[30:31], s[10:11], v[8:9] neg_lo:[0,0,1] neg_hi:[0,0,1]
	v_pk_add_f32 v[42:43], v[84:85], v[42:43]
	v_pk_add_f32 v[44:45], v[62:63], v[44:45]
	v_mov_b32_e32 v67, v47
	v_pk_fma_f32 v[46:47], v[28:29], s[18:19], v[64:65] neg_lo:[0,0,1] neg_hi:[0,0,1]
	v_pk_add_f32 v[0:1], v[6:7], v[0:1]
	v_mov_b32_e32 v11, v3
	v_pk_fma_f32 v[2:3], v[28:29], s[12:13], v[12:13] neg_lo:[0,0,1] neg_hi:[0,0,1]
	v_pk_add_f32 v[42:43], v[88:89], v[42:43]
	v_pk_add_f32 v[44:45], v[66:67], v[44:45]
	v_mov_b32_e32 v71, v47
	v_pk_fma_f32 v[46:47], v[26:27], s[22:23], v[68:69] neg_lo:[0,0,1] neg_hi:[0,0,1]
	v_pk_add_f32 v[0:1], v[10:11], v[0:1]
	v_mov_b32_e32 v15, v3
	v_pk_fma_f32 v[2:3], v[26:27], s[14:15], v[16:17] neg_lo:[0,0,1] neg_hi:[0,0,1]
	v_pk_add_f32 v[42:43], v[92:93], v[42:43]
	v_pk_add_f32 v[44:45], v[70:71], v[44:45]
	v_mov_b32_e32 v75, v47
	v_pk_add_f32 v[0:1], v[14:15], v[0:1]
	v_mov_b32_e32 v19, v3
	v_pk_add_f32 v[112:113], v[118:119], v[112:113]
	v_pk_add_f32 v[42:43], v[96:97], v[42:43]
	;; [unrolled: 1-line block ×4, first 2 shown]
	ds_write2_b64 v23, v[76:77], v[112:113] offset0:4 offset1:5
	ds_write2_b64 v23, v[42:43], v[44:45] offset0:8 offset1:9
	ds_write_b64 v23, v[0:1] offset:80
.LBB0_12:
	s_or_b64 exec, exec, s[2:3]
	v_add_u32_e32 v0, -11, v22
	v_cmp_gt_u32_e64 s[0:1], 11, v22
	v_mov_b32_e32 v17, 0
	s_waitcnt lgkmcnt(0)
	v_cndmask_b32_e64 v28, v0, v22, s[0:1]
	v_mul_i32_i24_e32 v16, 5, v28
	v_lshl_add_u64 v[8:9], v[16:17], 3, s[4:5]
	s_barrier
	global_load_dwordx4 v[0:3], v[8:9], off
	global_load_dwordx4 v[4:7], v[8:9], off offset:16
	global_load_dwordx2 v[18:19], v[8:9], off offset:32
	ds_read2_b64 v[8:11], v39 offset0:22 offset1:44
	ds_read2_b64 v[12:15], v39 offset0:66 offset1:88
	ds_read_b64 v[24:25], v39 offset:880
	ds_read_b64 v[26:27], v38
	v_mov_b32_e32 v16, 0x210
	v_cmp_lt_u32_e64 s[0:1], 10, v22
	v_mov_b32_e32 v23, v17
	v_lshlrev_b32_e32 v28, 3, v28
	v_cndmask_b32_e64 v16, 0, v16, s[0:1]
	v_add_u32_e32 v29, 0, v16
	v_lshl_add_u64 v[16:17], v[22:23], 3, s[4:5]
	v_add3_u32 v23, v29, v28, v40
	s_mov_b32 s2, 0x3f5db3d7
	s_mov_b32 s3, 0xbf5db3d7
	s_waitcnt lgkmcnt(0)
	s_barrier
	s_waitcnt vmcnt(2)
	v_pk_mul_f32 v[28:29], v[0:1], v[8:9] op_sel:[0,1]
	v_pk_mul_f32 v[30:31], v[2:3], v[10:11] op_sel:[0,1]
	s_waitcnt vmcnt(1)
	v_pk_mul_f32 v[32:33], v[4:5], v[12:13] op_sel:[0,1]
	v_pk_mul_f32 v[34:35], v[6:7], v[14:15] op_sel:[0,1]
	s_waitcnt vmcnt(0)
	v_pk_mul_f32 v[40:41], v[18:19], v[24:25] op_sel:[0,1]
	v_pk_fma_f32 v[42:43], v[0:1], v[8:9], v[28:29] op_sel:[0,0,1] op_sel_hi:[1,1,0] neg_lo:[0,0,1] neg_hi:[0,0,1]
	v_pk_fma_f32 v[0:1], v[0:1], v[8:9], v[28:29] op_sel:[0,0,1] op_sel_hi:[1,0,0]
	v_pk_fma_f32 v[8:9], v[2:3], v[10:11], v[30:31] op_sel:[0,0,1] op_sel_hi:[1,1,0] neg_lo:[0,0,1] neg_hi:[0,0,1]
	v_pk_fma_f32 v[2:3], v[2:3], v[10:11], v[30:31] op_sel:[0,0,1] op_sel_hi:[1,0,0]
	;; [unrolled: 2-line block ×5, first 2 shown]
	v_mov_b32_e32 v9, v3
	v_mov_b32_e32 v11, v5
	;; [unrolled: 1-line block ×5, first 2 shown]
	v_pk_add_f32 v[0:1], v[26:27], v[8:9]
	v_pk_add_f32 v[4:5], v[8:9], v[12:13]
	v_pk_add_f32 v[6:7], v[8:9], v[12:13] neg_lo:[0,1] neg_hi:[0,1]
	v_pk_add_f32 v[8:9], v[10:11], v[14:15]
	v_pk_add_f32 v[2:3], v[42:43], v[10:11]
	v_pk_add_f32 v[10:11], v[10:11], v[14:15] neg_lo:[0,1] neg_hi:[0,1]
	v_pk_fma_f32 v[4:5], v[4:5], 0.5, v[26:27] op_sel_hi:[1,0,1] neg_lo:[1,0,0] neg_hi:[1,0,0]
	v_pk_mul_f32 v[6:7], v[6:7], s[2:3] op_sel_hi:[1,0]
	v_pk_fma_f32 v[8:9], v[8:9], 0.5, v[42:43] op_sel_hi:[1,0,1] neg_lo:[1,0,0] neg_hi:[1,0,0]
	v_pk_add_f32 v[0:1], v[0:1], v[12:13]
	v_pk_add_f32 v[2:3], v[2:3], v[14:15]
	v_pk_add_f32 v[14:15], v[6:7], v[4:5] op_sel:[1,0] op_sel_hi:[0,1]
	v_pk_add_f32 v[4:5], v[4:5], v[6:7] op_sel:[0,1] op_sel_hi:[1,0] neg_lo:[0,1] neg_hi:[0,1]
	v_pk_fma_f32 v[6:7], v[10:11], s[2:3], v[8:9] op_sel:[0,0,1] op_sel_hi:[1,0,0]
	v_pk_fma_f32 v[8:9], v[10:11], s[2:3], v[8:9] op_sel:[0,0,1] op_sel_hi:[1,0,0] neg_lo:[1,0,0] neg_hi:[1,0,0]
	v_pk_add_f32 v[12:13], v[0:1], v[2:3]
	v_pk_add_f32 v[0:1], v[0:1], v[2:3] neg_lo:[0,1] neg_hi:[0,1]
	v_mov_b32_e32 v2, v4
	v_mov_b32_e32 v10, v6
	;; [unrolled: 1-line block ×3, first 2 shown]
	v_mul_f32_e32 v4, 0x3f5db3d7, v8
	v_mov_b32_e32 v3, v15
	v_mul_f32_e32 v15, 0xbf5db3d7, v7
	v_fmac_f32_e32 v4, 0.5, v7
	v_pk_mul_f32 v[6:7], v[10:11], 0.5 op_sel_hi:[1,0]
	v_fmac_f32_e32 v15, 0.5, v8
	v_pk_fma_f32 v[6:7], v[10:11], s[2:3], v[6:7] op_sel:[0,0,1] op_sel_hi:[1,1,0] neg_lo:[0,0,1] neg_hi:[0,0,1]
	v_add_f32_e32 v8, v14, v4
	v_add_f32_e32 v9, v5, v15
	v_pk_add_f32 v[10:11], v[2:3], v[6:7]
	v_sub_f32_e32 v4, v14, v4
	v_sub_f32_e32 v5, v5, v15
	ds_write2_b64 v23, v[12:13], v[8:9] offset1:11
	v_pk_add_f32 v[2:3], v[2:3], v[6:7] neg_lo:[0,1] neg_hi:[0,1]
	ds_write2_b64 v23, v[10:11], v[0:1] offset0:22 offset1:33
	ds_write2_b64 v23, v[4:5], v[2:3] offset0:44 offset1:55
	s_waitcnt lgkmcnt(0)
	s_barrier
	global_load_dwordx2 v[8:9], v[16:17], off offset:440
	global_load_dwordx2 v[10:11], v[16:17], off offset:616
	;; [unrolled: 1-line block ×3, first 2 shown]
	ds_read2_b64 v[0:3], v39 offset0:66 offset1:88
	ds_read2_b64 v[4:7], v39 offset0:22 offset1:44
	ds_read_b64 v[14:15], v38
	ds_read_b64 v[16:17], v39 offset:880
	s_waitcnt lgkmcnt(0)
	s_barrier
	s_waitcnt vmcnt(2)
	v_pk_mul_f32 v[18:19], v[8:9], v[0:1] op_sel:[0,1]
	s_waitcnt vmcnt(1)
	v_pk_mul_f32 v[24:25], v[10:11], v[2:3] op_sel:[0,1]
	;; [unrolled: 2-line block ×3, first 2 shown]
	v_pk_fma_f32 v[28:29], v[8:9], v[0:1], v[18:19] op_sel:[0,0,1] op_sel_hi:[1,1,0] neg_lo:[0,0,1] neg_hi:[0,0,1]
	v_pk_fma_f32 v[0:1], v[8:9], v[0:1], v[18:19] op_sel:[0,0,1] op_sel_hi:[1,0,0]
	v_pk_fma_f32 v[8:9], v[10:11], v[2:3], v[24:25] op_sel:[0,0,1] op_sel_hi:[1,1,0] neg_lo:[0,0,1] neg_hi:[0,0,1]
	v_pk_fma_f32 v[2:3], v[10:11], v[2:3], v[24:25] op_sel:[0,0,1] op_sel_hi:[1,0,0]
	;; [unrolled: 2-line block ×3, first 2 shown]
	v_mov_b32_e32 v29, v1
	v_mov_b32_e32 v9, v3
	;; [unrolled: 1-line block ×3, first 2 shown]
	v_pk_add_f32 v[0:1], v[14:15], v[28:29] neg_lo:[0,1] neg_hi:[0,1]
	v_pk_add_f32 v[2:3], v[4:5], v[8:9] neg_lo:[0,1] neg_hi:[0,1]
	;; [unrolled: 1-line block ×3, first 2 shown]
	v_pk_fma_f32 v[10:11], v[14:15], 2.0, v[0:1] op_sel_hi:[1,0,1] neg_lo:[0,0,1] neg_hi:[0,0,1]
	v_pk_fma_f32 v[4:5], v[4:5], 2.0, v[2:3] op_sel_hi:[1,0,1] neg_lo:[0,0,1] neg_hi:[0,0,1]
	v_pk_fma_f32 v[6:7], v[6:7], 2.0, v[8:9] op_sel_hi:[1,0,1] neg_lo:[0,0,1] neg_hi:[0,0,1]
	ds_write2_b64 v39, v[2:3], v[8:9] offset0:88 offset1:110
	ds_write2_b64 v39, v[10:11], v[4:5] offset1:22
	ds_write2_b64 v39, v[6:7], v[0:1] offset0:44 offset1:66
	s_waitcnt lgkmcnt(0)
	s_barrier
	s_and_saveexec_b64 s[0:1], vcc
	s_cbranch_execz .LBB0_14
; %bb.13:
	v_mad_u64_u32 v[4:5], s[0:1], s8, v22, 0
	ds_read2_b64 v[0:3], v38 offset1:22
	v_mov_b32_e32 v6, v5
	v_mad_u64_u32 v[6:7], s[0:1], s9, v22, v[6:7]
	v_mov_b32_e32 v5, v6
	v_lshl_add_u64 v[4:5], v[4:5], 3, v[20:21]
	s_waitcnt lgkmcnt(0)
	global_store_dwordx2 v[4:5], v[0:1], off
	v_mad_u64_u32 v[0:1], s[0:1], s8, v37, 0
	v_mov_b32_e32 v4, v1
	v_mad_u64_u32 v[4:5], s[0:1], s9, v37, v[4:5]
	v_mov_b32_e32 v1, v4
	v_lshl_add_u64 v[0:1], v[0:1], 3, v[20:21]
	global_store_dwordx2 v[0:1], v[2:3], off
	v_mad_u64_u32 v[4:5], s[0:1], s8, v36, 0
	ds_read2_b64 v[0:3], v38 offset0:44 offset1:66
	v_mov_b32_e32 v6, v5
	v_mad_u64_u32 v[6:7], s[0:1], s9, v36, v[6:7]
	v_mov_b32_e32 v5, v6
	v_lshl_add_u64 v[4:5], v[4:5], 3, v[20:21]
	s_waitcnt lgkmcnt(0)
	global_store_dwordx2 v[4:5], v[0:1], off
	v_add_u32_e32 v5, 0x42, v22
	v_mad_u64_u32 v[0:1], s[0:1], s8, v5, 0
	v_mov_b32_e32 v4, v1
	v_mad_u64_u32 v[4:5], s[0:1], s9, v5, v[4:5]
	v_mov_b32_e32 v1, v4
	v_lshl_add_u64 v[0:1], v[0:1], 3, v[20:21]
	v_add_u32_e32 v7, 0x58, v22
	global_store_dwordx2 v[0:1], v[2:3], off
	v_mad_u64_u32 v[4:5], s[0:1], s8, v7, 0
	ds_read2_b64 v[0:3], v38 offset0:88 offset1:110
	v_mov_b32_e32 v6, v5
	v_mad_u64_u32 v[6:7], s[0:1], s9, v7, v[6:7]
	v_mov_b32_e32 v5, v6
	v_lshl_add_u64 v[4:5], v[4:5], 3, v[20:21]
	s_waitcnt lgkmcnt(0)
	global_store_dwordx2 v[4:5], v[0:1], off
	v_add_u32_e32 v5, 0x6e, v22
	v_mad_u64_u32 v[0:1], s[0:1], s8, v5, 0
	v_mov_b32_e32 v4, v1
	v_mad_u64_u32 v[4:5], s[0:1], s9, v5, v[4:5]
	v_mov_b32_e32 v1, v4
	v_lshl_add_u64 v[0:1], v[0:1], 3, v[20:21]
	global_store_dwordx2 v[0:1], v[2:3], off
.LBB0_14:
	s_endpgm
	.section	.rodata,"a",@progbits
	.p2align	6, 0x0
	.amdhsa_kernel fft_rtc_fwd_len132_factors_11_6_2_wgs_110_tpt_22_sp_ip_CI_sbrr_dirReg
		.amdhsa_group_segment_fixed_size 0
		.amdhsa_private_segment_fixed_size 0
		.amdhsa_kernarg_size 88
		.amdhsa_user_sgpr_count 2
		.amdhsa_user_sgpr_dispatch_ptr 0
		.amdhsa_user_sgpr_queue_ptr 0
		.amdhsa_user_sgpr_kernarg_segment_ptr 1
		.amdhsa_user_sgpr_dispatch_id 0
		.amdhsa_user_sgpr_kernarg_preload_length 0
		.amdhsa_user_sgpr_kernarg_preload_offset 0
		.amdhsa_user_sgpr_private_segment_size 0
		.amdhsa_uses_dynamic_stack 0
		.amdhsa_enable_private_segment 0
		.amdhsa_system_sgpr_workgroup_id_x 1
		.amdhsa_system_sgpr_workgroup_id_y 0
		.amdhsa_system_sgpr_workgroup_id_z 0
		.amdhsa_system_sgpr_workgroup_info 0
		.amdhsa_system_vgpr_workitem_id 0
		.amdhsa_next_free_vgpr 128
		.amdhsa_next_free_sgpr 40
		.amdhsa_accum_offset 128
		.amdhsa_reserve_vcc 1
		.amdhsa_float_round_mode_32 0
		.amdhsa_float_round_mode_16_64 0
		.amdhsa_float_denorm_mode_32 3
		.amdhsa_float_denorm_mode_16_64 3
		.amdhsa_dx10_clamp 1
		.amdhsa_ieee_mode 1
		.amdhsa_fp16_overflow 0
		.amdhsa_tg_split 0
		.amdhsa_exception_fp_ieee_invalid_op 0
		.amdhsa_exception_fp_denorm_src 0
		.amdhsa_exception_fp_ieee_div_zero 0
		.amdhsa_exception_fp_ieee_overflow 0
		.amdhsa_exception_fp_ieee_underflow 0
		.amdhsa_exception_fp_ieee_inexact 0
		.amdhsa_exception_int_div_zero 0
	.end_amdhsa_kernel
	.text
.Lfunc_end0:
	.size	fft_rtc_fwd_len132_factors_11_6_2_wgs_110_tpt_22_sp_ip_CI_sbrr_dirReg, .Lfunc_end0-fft_rtc_fwd_len132_factors_11_6_2_wgs_110_tpt_22_sp_ip_CI_sbrr_dirReg
                                        ; -- End function
	.section	.AMDGPU.csdata,"",@progbits
; Kernel info:
; codeLenInByte = 4692
; NumSgprs: 46
; NumVgprs: 128
; NumAgprs: 0
; TotalNumVgprs: 128
; ScratchSize: 0
; MemoryBound: 0
; FloatMode: 240
; IeeeMode: 1
; LDSByteSize: 0 bytes/workgroup (compile time only)
; SGPRBlocks: 5
; VGPRBlocks: 15
; NumSGPRsForWavesPerEU: 46
; NumVGPRsForWavesPerEU: 128
; AccumOffset: 128
; Occupancy: 4
; WaveLimiterHint : 1
; COMPUTE_PGM_RSRC2:SCRATCH_EN: 0
; COMPUTE_PGM_RSRC2:USER_SGPR: 2
; COMPUTE_PGM_RSRC2:TRAP_HANDLER: 0
; COMPUTE_PGM_RSRC2:TGID_X_EN: 1
; COMPUTE_PGM_RSRC2:TGID_Y_EN: 0
; COMPUTE_PGM_RSRC2:TGID_Z_EN: 0
; COMPUTE_PGM_RSRC2:TIDIG_COMP_CNT: 0
; COMPUTE_PGM_RSRC3_GFX90A:ACCUM_OFFSET: 31
; COMPUTE_PGM_RSRC3_GFX90A:TG_SPLIT: 0
	.text
	.p2alignl 6, 3212836864
	.fill 256, 4, 3212836864
	.type	__hip_cuid_f9c7a3615c6e4e6e,@object ; @__hip_cuid_f9c7a3615c6e4e6e
	.section	.bss,"aw",@nobits
	.globl	__hip_cuid_f9c7a3615c6e4e6e
__hip_cuid_f9c7a3615c6e4e6e:
	.byte	0                               ; 0x0
	.size	__hip_cuid_f9c7a3615c6e4e6e, 1

	.ident	"AMD clang version 19.0.0git (https://github.com/RadeonOpenCompute/llvm-project roc-6.4.0 25133 c7fe45cf4b819c5991fe208aaa96edf142730f1d)"
	.section	".note.GNU-stack","",@progbits
	.addrsig
	.addrsig_sym __hip_cuid_f9c7a3615c6e4e6e
	.amdgpu_metadata
---
amdhsa.kernels:
  - .agpr_count:     0
    .args:
      - .actual_access:  read_only
        .address_space:  global
        .offset:         0
        .size:           8
        .value_kind:     global_buffer
      - .offset:         8
        .size:           8
        .value_kind:     by_value
      - .actual_access:  read_only
        .address_space:  global
        .offset:         16
        .size:           8
        .value_kind:     global_buffer
      - .actual_access:  read_only
        .address_space:  global
        .offset:         24
        .size:           8
        .value_kind:     global_buffer
      - .offset:         32
        .size:           8
        .value_kind:     by_value
      - .actual_access:  read_only
        .address_space:  global
        .offset:         40
        .size:           8
        .value_kind:     global_buffer
      - .actual_access:  read_only
        .address_space:  global
        .offset:         48
        .size:           8
        .value_kind:     global_buffer
      - .offset:         56
        .size:           4
        .value_kind:     by_value
      - .actual_access:  read_only
        .address_space:  global
        .offset:         64
        .size:           8
        .value_kind:     global_buffer
      - .actual_access:  read_only
        .address_space:  global
        .offset:         72
        .size:           8
        .value_kind:     global_buffer
      - .address_space:  global
        .offset:         80
        .size:           8
        .value_kind:     global_buffer
    .group_segment_fixed_size: 0
    .kernarg_segment_align: 8
    .kernarg_segment_size: 88
    .language:       OpenCL C
    .language_version:
      - 2
      - 0
    .max_flat_workgroup_size: 110
    .name:           fft_rtc_fwd_len132_factors_11_6_2_wgs_110_tpt_22_sp_ip_CI_sbrr_dirReg
    .private_segment_fixed_size: 0
    .sgpr_count:     46
    .sgpr_spill_count: 0
    .symbol:         fft_rtc_fwd_len132_factors_11_6_2_wgs_110_tpt_22_sp_ip_CI_sbrr_dirReg.kd
    .uniform_work_group_size: 1
    .uses_dynamic_stack: false
    .vgpr_count:     128
    .vgpr_spill_count: 0
    .wavefront_size: 64
amdhsa.target:   amdgcn-amd-amdhsa--gfx950
amdhsa.version:
  - 1
  - 2
...

	.end_amdgpu_metadata
